;; amdgpu-corpus repo=ROCm/rocFFT kind=compiled arch=gfx950 opt=O3
	.text
	.amdgcn_target "amdgcn-amd-amdhsa--gfx950"
	.amdhsa_code_object_version 6
	.protected	fft_rtc_fwd_len1408_factors_2_2_2_2_2_2_11_2_wgs_176_tpt_176_halfLds_dp_ip_CI_unitstride_sbrr_R2C_dirReg ; -- Begin function fft_rtc_fwd_len1408_factors_2_2_2_2_2_2_11_2_wgs_176_tpt_176_halfLds_dp_ip_CI_unitstride_sbrr_R2C_dirReg
	.globl	fft_rtc_fwd_len1408_factors_2_2_2_2_2_2_11_2_wgs_176_tpt_176_halfLds_dp_ip_CI_unitstride_sbrr_R2C_dirReg
	.p2align	8
	.type	fft_rtc_fwd_len1408_factors_2_2_2_2_2_2_11_2_wgs_176_tpt_176_halfLds_dp_ip_CI_unitstride_sbrr_R2C_dirReg,@function
fft_rtc_fwd_len1408_factors_2_2_2_2_2_2_11_2_wgs_176_tpt_176_halfLds_dp_ip_CI_unitstride_sbrr_R2C_dirReg: ; @fft_rtc_fwd_len1408_factors_2_2_2_2_2_2_11_2_wgs_176_tpt_176_halfLds_dp_ip_CI_unitstride_sbrr_R2C_dirReg
; %bb.0:
	s_load_dwordx2 s[8:9], s[0:1], 0x50
	s_load_dwordx4 s[4:7], s[0:1], 0x0
	s_load_dwordx2 s[10:11], s[0:1], 0x18
	v_mul_u32_u24_e32 v1, 0x175, v0
	v_add_u32_sdwa v6, s2, v1 dst_sel:DWORD dst_unused:UNUSED_PAD src0_sel:DWORD src1_sel:WORD_1
	v_mov_b32_e32 v4, 0
	s_waitcnt lgkmcnt(0)
	v_cmp_lt_u64_e64 s[2:3], s[6:7], 2
	v_mov_b32_e32 v7, v4
	s_and_b64 vcc, exec, s[2:3]
	v_mov_b64_e32 v[2:3], 0
	s_cbranch_vccnz .LBB0_8
; %bb.1:
	s_load_dwordx2 s[2:3], s[0:1], 0x10
	s_add_u32 s12, s10, 8
	s_addc_u32 s13, s11, 0
	s_mov_b64 s[14:15], 1
	v_mov_b64_e32 v[2:3], 0
	s_waitcnt lgkmcnt(0)
	s_add_u32 s16, s2, 8
	s_addc_u32 s17, s3, 0
.LBB0_2:                                ; =>This Inner Loop Header: Depth=1
	s_load_dwordx2 s[18:19], s[16:17], 0x0
                                        ; implicit-def: $vgpr8_vgpr9
	s_waitcnt lgkmcnt(0)
	v_or_b32_e32 v5, s19, v7
	v_cmp_ne_u64_e32 vcc, 0, v[4:5]
	s_and_saveexec_b64 s[2:3], vcc
	s_xor_b64 s[20:21], exec, s[2:3]
	s_cbranch_execz .LBB0_4
; %bb.3:                                ;   in Loop: Header=BB0_2 Depth=1
	v_cvt_f32_u32_e32 v1, s18
	v_cvt_f32_u32_e32 v5, s19
	s_sub_u32 s2, 0, s18
	s_subb_u32 s3, 0, s19
	v_fmac_f32_e32 v1, 0x4f800000, v5
	v_rcp_f32_e32 v1, v1
	s_nop 0
	v_mul_f32_e32 v1, 0x5f7ffffc, v1
	v_mul_f32_e32 v5, 0x2f800000, v1
	v_trunc_f32_e32 v5, v5
	v_fmac_f32_e32 v1, 0xcf800000, v5
	v_cvt_u32_f32_e32 v5, v5
	v_cvt_u32_f32_e32 v1, v1
	v_mul_lo_u32 v8, s2, v5
	v_mul_hi_u32 v10, s2, v1
	v_mul_lo_u32 v9, s3, v1
	v_add_u32_e32 v10, v10, v8
	v_mul_lo_u32 v12, s2, v1
	v_add_u32_e32 v13, v10, v9
	v_mul_hi_u32 v8, v1, v12
	v_mul_hi_u32 v11, v1, v13
	v_mul_lo_u32 v10, v1, v13
	v_mov_b32_e32 v9, v4
	v_lshl_add_u64 v[8:9], v[8:9], 0, v[10:11]
	v_mul_hi_u32 v11, v5, v12
	v_mul_lo_u32 v12, v5, v12
	v_add_co_u32_e32 v8, vcc, v8, v12
	v_mul_hi_u32 v10, v5, v13
	s_nop 0
	v_addc_co_u32_e32 v8, vcc, v9, v11, vcc
	v_mov_b32_e32 v9, v4
	s_nop 0
	v_addc_co_u32_e32 v11, vcc, 0, v10, vcc
	v_mul_lo_u32 v10, v5, v13
	v_lshl_add_u64 v[8:9], v[8:9], 0, v[10:11]
	v_add_co_u32_e32 v1, vcc, v1, v8
	v_mul_lo_u32 v10, s2, v1
	s_nop 0
	v_addc_co_u32_e32 v5, vcc, v5, v9, vcc
	v_mul_lo_u32 v8, s2, v5
	v_mul_hi_u32 v9, s2, v1
	v_add_u32_e32 v8, v9, v8
	v_mul_lo_u32 v9, s3, v1
	v_add_u32_e32 v12, v8, v9
	v_mul_hi_u32 v14, v5, v10
	v_mul_lo_u32 v15, v5, v10
	v_mul_hi_u32 v9, v1, v12
	v_mul_lo_u32 v8, v1, v12
	v_mul_hi_u32 v10, v1, v10
	v_mov_b32_e32 v11, v4
	v_lshl_add_u64 v[8:9], v[10:11], 0, v[8:9]
	v_add_co_u32_e32 v8, vcc, v8, v15
	v_mul_hi_u32 v13, v5, v12
	s_nop 0
	v_addc_co_u32_e32 v8, vcc, v9, v14, vcc
	v_mul_lo_u32 v10, v5, v12
	s_nop 0
	v_addc_co_u32_e32 v11, vcc, 0, v13, vcc
	v_mov_b32_e32 v9, v4
	v_lshl_add_u64 v[8:9], v[8:9], 0, v[10:11]
	v_add_co_u32_e32 v1, vcc, v1, v8
	v_mul_hi_u32 v10, v6, v1
	s_nop 0
	v_addc_co_u32_e32 v5, vcc, v5, v9, vcc
	v_mad_u64_u32 v[8:9], s[2:3], v6, v5, 0
	v_mov_b32_e32 v11, v4
	v_lshl_add_u64 v[8:9], v[10:11], 0, v[8:9]
	v_mad_u64_u32 v[12:13], s[2:3], v7, v1, 0
	v_add_co_u32_e32 v1, vcc, v8, v12
	v_mad_u64_u32 v[10:11], s[2:3], v7, v5, 0
	s_nop 0
	v_addc_co_u32_e32 v8, vcc, v9, v13, vcc
	v_mov_b32_e32 v9, v4
	s_nop 0
	v_addc_co_u32_e32 v11, vcc, 0, v11, vcc
	v_lshl_add_u64 v[8:9], v[8:9], 0, v[10:11]
	v_mul_lo_u32 v1, s19, v8
	v_mul_lo_u32 v5, s18, v9
	v_mad_u64_u32 v[10:11], s[2:3], s18, v8, 0
	v_add3_u32 v1, v11, v5, v1
	v_sub_u32_e32 v5, v7, v1
	v_mov_b32_e32 v11, s19
	v_sub_co_u32_e32 v14, vcc, v6, v10
	v_lshl_add_u64 v[12:13], v[8:9], 0, 1
	s_nop 0
	v_subb_co_u32_e64 v5, s[2:3], v5, v11, vcc
	v_subrev_co_u32_e64 v10, s[2:3], s18, v14
	v_subb_co_u32_e32 v1, vcc, v7, v1, vcc
	s_nop 0
	v_subbrev_co_u32_e64 v5, s[2:3], 0, v5, s[2:3]
	v_cmp_le_u32_e64 s[2:3], s19, v5
	v_cmp_le_u32_e32 vcc, s19, v1
	s_nop 0
	v_cndmask_b32_e64 v11, 0, -1, s[2:3]
	v_cmp_le_u32_e64 s[2:3], s18, v10
	s_nop 1
	v_cndmask_b32_e64 v10, 0, -1, s[2:3]
	v_cmp_eq_u32_e64 s[2:3], s19, v5
	s_nop 1
	v_cndmask_b32_e64 v5, v11, v10, s[2:3]
	v_lshl_add_u64 v[10:11], v[8:9], 0, 2
	v_cmp_ne_u32_e64 s[2:3], 0, v5
	s_nop 1
	v_cndmask_b32_e64 v5, v13, v11, s[2:3]
	v_cndmask_b32_e64 v11, 0, -1, vcc
	v_cmp_le_u32_e32 vcc, s18, v14
	s_nop 1
	v_cndmask_b32_e64 v13, 0, -1, vcc
	v_cmp_eq_u32_e32 vcc, s19, v1
	s_nop 1
	v_cndmask_b32_e32 v1, v11, v13, vcc
	v_cmp_ne_u32_e32 vcc, 0, v1
	v_cndmask_b32_e64 v1, v12, v10, s[2:3]
	s_nop 0
	v_cndmask_b32_e32 v9, v9, v5, vcc
	v_cndmask_b32_e32 v8, v8, v1, vcc
.LBB0_4:                                ;   in Loop: Header=BB0_2 Depth=1
	s_andn2_saveexec_b64 s[2:3], s[20:21]
	s_cbranch_execz .LBB0_6
; %bb.5:                                ;   in Loop: Header=BB0_2 Depth=1
	v_cvt_f32_u32_e32 v1, s18
	s_sub_i32 s20, 0, s18
	v_rcp_iflag_f32_e32 v1, v1
	s_nop 0
	v_mul_f32_e32 v1, 0x4f7ffffe, v1
	v_cvt_u32_f32_e32 v1, v1
	v_mul_lo_u32 v5, s20, v1
	v_mul_hi_u32 v5, v1, v5
	v_add_u32_e32 v1, v1, v5
	v_mul_hi_u32 v1, v6, v1
	v_mul_lo_u32 v5, v1, s18
	v_sub_u32_e32 v5, v6, v5
	v_add_u32_e32 v8, 1, v1
	v_subrev_u32_e32 v9, s18, v5
	v_cmp_le_u32_e32 vcc, s18, v5
	s_nop 1
	v_cndmask_b32_e32 v5, v5, v9, vcc
	v_cndmask_b32_e32 v1, v1, v8, vcc
	v_add_u32_e32 v8, 1, v1
	v_cmp_le_u32_e32 vcc, s18, v5
	v_mov_b32_e32 v9, v4
	s_nop 0
	v_cndmask_b32_e32 v8, v1, v8, vcc
.LBB0_6:                                ;   in Loop: Header=BB0_2 Depth=1
	s_or_b64 exec, exec, s[2:3]
	v_mad_u64_u32 v[10:11], s[2:3], v8, s18, 0
	s_load_dwordx2 s[2:3], s[12:13], 0x0
	v_mul_lo_u32 v1, v9, s18
	v_mul_lo_u32 v5, v8, s19
	v_add3_u32 v1, v11, v5, v1
	v_sub_co_u32_e32 v5, vcc, v6, v10
	s_add_u32 s14, s14, 1
	s_nop 0
	v_subb_co_u32_e32 v1, vcc, v7, v1, vcc
	s_addc_u32 s15, s15, 0
	s_waitcnt lgkmcnt(0)
	v_mul_lo_u32 v1, s2, v1
	v_mul_lo_u32 v6, s3, v5
	v_mad_u64_u32 v[2:3], s[2:3], s2, v5, v[2:3]
	s_add_u32 s12, s12, 8
	v_add3_u32 v3, v6, v3, v1
	s_addc_u32 s13, s13, 0
	v_mov_b64_e32 v[6:7], s[6:7]
	s_add_u32 s16, s16, 8
	v_cmp_ge_u64_e32 vcc, s[14:15], v[6:7]
	s_addc_u32 s17, s17, 0
	s_cbranch_vccnz .LBB0_9
; %bb.7:                                ;   in Loop: Header=BB0_2 Depth=1
	v_mov_b64_e32 v[6:7], v[8:9]
	s_branch .LBB0_2
.LBB0_8:
	v_mov_b64_e32 v[8:9], v[6:7]
.LBB0_9:
	s_lshl_b64 s[2:3], s[6:7], 3
	s_add_u32 s2, s10, s2
	s_addc_u32 s3, s11, s3
	s_load_dwordx2 s[6:7], s[2:3], 0x0
	s_load_dwordx2 s[10:11], s[0:1], 0x20
	s_mov_b32 s2, 0x1745d18
                                        ; implicit-def: $vgpr60
                                        ; implicit-def: $vgpr58
                                        ; implicit-def: $vgpr56
	s_waitcnt lgkmcnt(0)
	v_mul_lo_u32 v1, s6, v9
	v_mul_lo_u32 v4, s7, v8
	v_mad_u64_u32 v[2:3], s[0:1], s6, v8, v[2:3]
	v_add3_u32 v3, v4, v3, v1
	v_mul_hi_u32 v1, v0, s2
	v_mul_u32_u24_e32 v1, 0xb0, v1
	v_cmp_gt_u64_e64 s[0:1], s[10:11], v[8:9]
	v_cmp_le_u64_e32 vcc, s[10:11], v[8:9]
	v_sub_u32_e32 v52, v0, v1
	s_and_saveexec_b64 s[2:3], vcc
	s_xor_b64 s[2:3], exec, s[2:3]
; %bb.10:
	v_add_u32_e32 v60, 0xb0, v52
	v_add_u32_e32 v58, 0x160, v52
	;; [unrolled: 1-line block ×3, first 2 shown]
; %bb.11:
	s_or_saveexec_b64 s[2:3], s[2:3]
	v_lshl_add_u64 v[54:55], v[2:3], 4, s[8:9]
	s_xor_b64 exec, exec, s[2:3]
	s_cbranch_execz .LBB0_13
; %bb.12:
	v_mov_b32_e32 v53, 0
	v_lshl_add_u64 v[24:25], v[52:53], 4, v[54:55]
	v_add_co_u32_e32 v16, vcc, 0x1000, v24
	global_load_dwordx4 v[0:3], v[24:25], off
	global_load_dwordx4 v[4:7], v[24:25], off offset:2816
	v_addc_co_u32_e32 v17, vcc, 0, v25, vcc
	v_add_co_u32_e32 v26, vcc, 0x2000, v24
	v_add_u32_e32 v60, 0xb0, v52
	s_nop 0
	v_addc_co_u32_e32 v27, vcc, 0, v25, vcc
	v_add_co_u32_e32 v28, vcc, 0x3000, v24
	global_load_dwordx4 v[8:11], v[16:17], off offset:1536
	global_load_dwordx4 v[12:15], v[26:27], off offset:256
	v_addc_co_u32_e32 v29, vcc, 0, v25, vcc
	v_add_co_u32_e32 v32, vcc, 0x4000, v24
	global_load_dwordx4 v[16:19], v[26:27], off offset:3072
	global_load_dwordx4 v[20:23], v[28:29], off offset:1792
	v_addc_co_u32_e32 v33, vcc, 0, v25, vcc
	global_load_dwordx4 v[24:27], v[32:33], off offset:512
	global_load_dwordx4 v[28:31], v[32:33], off offset:3328
	v_lshl_add_u32 v32, v52, 4, 0
	v_add_u32_e32 v58, 0x160, v52
	v_add_u32_e32 v56, 0x210, v52
	s_waitcnt vmcnt(7)
	ds_write_b128 v32, v[0:3]
	s_waitcnt vmcnt(6)
	ds_write_b128 v32, v[4:7] offset:2816
	s_waitcnt vmcnt(5)
	ds_write_b128 v32, v[8:11] offset:5632
	;; [unrolled: 2-line block ×7, first 2 shown]
.LBB0_13:
	s_or_b64 exec, exec, s[2:3]
	v_lshlrev_b32_e32 v115, 4, v52
	v_add_u32_e32 v114, 0, v115
	s_waitcnt lgkmcnt(0)
	s_barrier
	ds_read_b128 v[0:3], v114
	ds_read_b128 v[4:7], v114 offset:2816
	ds_read_b128 v[8:11], v114 offset:11264
	;; [unrolled: 1-line block ×7, first 2 shown]
	s_waitcnt lgkmcnt(5)
	v_add_f64 v[8:9], v[0:1], -v[8:9]
	v_add_f64 v[10:11], v[2:3], -v[10:11]
	v_fma_f64 v[0:1], v[0:1], 2.0, -v[8:9]
	v_fma_f64 v[2:3], v[2:3], 2.0, -v[10:11]
	v_add_u32_e32 v32, v114, v115
	s_waitcnt lgkmcnt(4)
	v_add_f64 v[12:13], v[4:5], -v[12:13]
	v_add_f64 v[14:15], v[6:7], -v[14:15]
	s_waitcnt lgkmcnt(1)
	v_add_f64 v[24:25], v[16:17], -v[24:25]
	v_add_f64 v[26:27], v[18:19], -v[26:27]
	;; [unrolled: 3-line block ×3, first 2 shown]
	s_barrier
	ds_write_b128 v32, v[0:3]
	ds_write_b128 v32, v[8:11] offset:16
	v_and_b32_e32 v11, 1, v52
	v_fma_f64 v[4:5], v[4:5], 2.0, -v[12:13]
	v_fma_f64 v[6:7], v[6:7], 2.0, -v[14:15]
	;; [unrolled: 1-line block ×6, first 2 shown]
	v_lshl_add_u32 v116, v60, 5, 0
	v_lshl_add_u32 v117, v58, 5, 0
	;; [unrolled: 1-line block ×3, first 2 shown]
	v_lshlrev_b32_e32 v0, 4, v11
	ds_write_b128 v116, v[4:7]
	ds_write_b128 v116, v[12:15] offset:16
	ds_write_b128 v117, v[16:19]
	ds_write_b128 v117, v[24:27] offset:16
	;; [unrolled: 2-line block ×3, first 2 shown]
	s_waitcnt lgkmcnt(0)
	s_barrier
	global_load_dwordx4 v[0:3], v0, s[4:5]
	v_lshlrev_b32_e32 v44, 4, v60
	v_lshlrev_b32_e32 v45, 4, v58
	;; [unrolled: 1-line block ×3, first 2 shown]
	v_sub_u32_e32 v6, v116, v44
	v_sub_u32_e32 v4, v117, v45
	;; [unrolled: 1-line block ×3, first 2 shown]
	ds_read_b128 v[12:15], v114
	ds_read_b128 v[16:19], v114 offset:11264
	ds_read_b128 v[20:23], v114 offset:14080
	;; [unrolled: 1-line block ×3, first 2 shown]
	ds_read_b128 v[28:31], v6
	ds_read_b128 v[32:35], v114 offset:19712
	ds_read_b128 v[36:39], v4
	ds_read_b128 v[40:43], v5
	v_lshlrev_b32_e32 v7, 1, v52
	s_movk_i32 s2, 0x1fc
	v_lshlrev_b32_e32 v8, 1, v60
	s_waitcnt lgkmcnt(0)
	s_barrier
	v_lshlrev_b32_e32 v9, 1, v58
	v_lshlrev_b32_e32 v10, 1, v56
	s_movk_i32 s3, 0x3f8
	s_movk_i32 s6, 0x7f0
	s_movk_i32 s7, 0x80
	v_cmp_gt_u32_e32 vcc, s7, v52
	s_waitcnt vmcnt(0)
	v_mul_f64 v[48:49], v[18:19], v[2:3]
	v_mul_f64 v[62:63], v[22:23], v[2:3]
	;; [unrolled: 1-line block ×8, first 2 shown]
	v_fma_f64 v[2:3], v[16:17], v[0:1], -v[48:49]
	v_fma_f64 v[16:17], v[20:21], v[0:1], -v[62:63]
	;; [unrolled: 1-line block ×4, first 2 shown]
	v_fmac_f64_e32 v[50:51], v[18:19], v[0:1]
	v_add_f64 v[16:17], v[28:29], -v[16:17]
	v_add_f64 v[20:21], v[36:37], -v[20:21]
	;; [unrolled: 1-line block ×3, first 2 shown]
	v_fmac_f64_e32 v[64:65], v[22:23], v[0:1]
	v_fmac_f64_e32 v[68:69], v[26:27], v[0:1]
	;; [unrolled: 1-line block ×3, first 2 shown]
	v_add_f64 v[0:1], v[12:13], -v[2:3]
	v_add_f64 v[2:3], v[14:15], -v[50:51]
	v_fma_f64 v[24:25], v[28:29], 2.0, -v[16:17]
	v_fma_f64 v[28:29], v[36:37], 2.0, -v[20:21]
	;; [unrolled: 1-line block ×3, first 2 shown]
	v_and_or_b32 v40, v7, s2, v11
	v_fma_f64 v[12:13], v[12:13], 2.0, -v[0:1]
	v_fma_f64 v[14:15], v[14:15], 2.0, -v[2:3]
	v_lshl_add_u32 v40, v40, 4, 0
	s_movk_i32 s2, 0x3fc
	v_add_f64 v[18:19], v[30:31], -v[64:65]
	ds_write_b128 v40, v[12:15]
	ds_write_b128 v40, v[0:3] offset:32
	v_and_or_b32 v0, v8, s2, v11
	v_fma_f64 v[26:27], v[30:31], 2.0, -v[18:19]
	v_lshl_add_u32 v0, v0, 4, 0
	s_movk_i32 s2, 0x7fc
	v_add_f64 v[22:23], v[38:39], -v[68:69]
	ds_write_b128 v0, v[24:27]
	ds_write_b128 v0, v[16:19] offset:32
	v_and_or_b32 v0, v9, s2, v11
	v_fma_f64 v[30:31], v[38:39], 2.0, -v[22:23]
	v_lshl_add_u32 v0, v0, 4, 0
	v_add_f64 v[34:35], v[42:43], -v[72:73]
	ds_write_b128 v0, v[28:31]
	ds_write_b128 v0, v[20:23] offset:32
	v_and_or_b32 v0, v10, s2, v11
	v_fma_f64 v[38:39], v[42:43], 2.0, -v[34:35]
	v_lshl_add_u32 v0, v0, 4, 0
	v_and_b32_e32 v11, 3, v52
	ds_write_b128 v0, v[36:39]
	ds_write_b128 v0, v[32:35] offset:32
	v_lshlrev_b32_e32 v0, 4, v11
	s_waitcnt lgkmcnt(0)
	s_barrier
	global_load_dwordx4 v[0:3], v0, s[4:5] offset:32
	s_movk_i32 s2, 0x1f8
	v_and_or_b32 v12, v7, s2, v11
	v_lshl_add_u32 v53, v12, 4, 0
	ds_read_b128 v[12:15], v114
	ds_read_b128 v[16:19], v114 offset:11264
	ds_read_b128 v[20:23], v114 offset:14080
	ds_read_b128 v[24:27], v114 offset:16896
	ds_read_b128 v[28:31], v6
	ds_read_b128 v[32:35], v114 offset:19712
	ds_read_b128 v[36:39], v4
	ds_read_b128 v[40:43], v5
	v_and_or_b32 v47, v8, s3, v11
	s_waitcnt lgkmcnt(0)
	s_barrier
	s_movk_i32 s2, 0x7f8
	s_movk_i32 s3, 0x3f0
	s_waitcnt vmcnt(0)
	v_mul_f64 v[48:49], v[18:19], v[2:3]
	v_mul_f64 v[50:51], v[16:17], v[2:3]
	;; [unrolled: 1-line block ×8, first 2 shown]
	v_fma_f64 v[2:3], v[16:17], v[0:1], -v[48:49]
	v_fmac_f64_e32 v[50:51], v[18:19], v[0:1]
	v_fma_f64 v[16:17], v[20:21], v[0:1], -v[62:63]
	v_fmac_f64_e32 v[64:65], v[22:23], v[0:1]
	v_fma_f64 v[20:21], v[24:25], v[0:1], -v[66:67]
	v_fmac_f64_e32 v[68:69], v[26:27], v[0:1]
	v_fma_f64 v[24:25], v[32:33], v[0:1], -v[70:71]
	v_fmac_f64_e32 v[72:73], v[34:35], v[0:1]
	v_add_f64 v[0:1], v[12:13], -v[2:3]
	v_add_f64 v[2:3], v[14:15], -v[50:51]
	;; [unrolled: 1-line block ×4, first 2 shown]
	v_fma_f64 v[12:13], v[12:13], 2.0, -v[0:1]
	v_fma_f64 v[14:15], v[14:15], 2.0, -v[2:3]
	;; [unrolled: 1-line block ×4, first 2 shown]
	ds_write_b128 v53, v[0:3] offset:64
	ds_write_b128 v53, v[12:15]
	v_lshl_add_u32 v0, v47, 4, 0
	v_add_f64 v[20:21], v[36:37], -v[20:21]
	v_add_f64 v[22:23], v[38:39], -v[68:69]
	ds_write_b128 v0, v[28:31]
	ds_write_b128 v0, v[16:19] offset:64
	v_and_or_b32 v0, v9, s2, v11
	v_fma_f64 v[32:33], v[36:37], 2.0, -v[20:21]
	v_fma_f64 v[34:35], v[38:39], 2.0, -v[22:23]
	v_lshl_add_u32 v0, v0, 4, 0
	v_add_f64 v[24:25], v[40:41], -v[24:25]
	v_add_f64 v[26:27], v[42:43], -v[72:73]
	ds_write_b128 v0, v[32:35]
	ds_write_b128 v0, v[20:23] offset:64
	v_and_or_b32 v0, v10, s2, v11
	v_fma_f64 v[36:37], v[40:41], 2.0, -v[24:25]
	v_fma_f64 v[38:39], v[42:43], 2.0, -v[26:27]
	v_lshl_add_u32 v0, v0, 4, 0
	v_and_b32_e32 v11, 7, v52
	ds_write_b128 v0, v[36:39]
	ds_write_b128 v0, v[24:27] offset:64
	v_lshlrev_b32_e32 v0, 4, v11
	s_waitcnt lgkmcnt(0)
	s_barrier
	global_load_dwordx4 v[0:3], v0, s[4:5] offset:96
	s_movk_i32 s2, 0x1f0
	v_and_or_b32 v12, v7, s2, v11
	v_and_or_b32 v13, v8, s3, v11
	;; [unrolled: 1-line block ×3, first 2 shown]
	v_lshl_add_u32 v53, v12, 4, 0
	v_lshl_add_u32 v57, v13, 4, 0
	;; [unrolled: 1-line block ×3, first 2 shown]
	ds_read_b128 v[12:15], v114
	ds_read_b128 v[16:19], v114 offset:11264
	ds_read_b128 v[20:23], v114 offset:14080
	;; [unrolled: 1-line block ×3, first 2 shown]
	ds_read_b128 v[28:31], v6
	ds_read_b128 v[32:35], v114 offset:19712
	ds_read_b128 v[36:39], v4
	ds_read_b128 v[40:43], v5
	v_and_b32_e32 v47, 15, v52
	v_and_or_b32 v11, v10, s6, v11
	v_lshl_add_u32 v11, v11, 4, 0
	s_waitcnt lgkmcnt(0)
	s_barrier
	s_movk_i32 s2, 0x1e0
	s_movk_i32 s3, 0x3e0
	;; [unrolled: 1-line block ×3, first 2 shown]
	s_waitcnt vmcnt(0)
	v_mul_f64 v[48:49], v[18:19], v[2:3]
	v_mul_f64 v[50:51], v[16:17], v[2:3]
	;; [unrolled: 1-line block ×8, first 2 shown]
	v_fma_f64 v[2:3], v[16:17], v[0:1], -v[48:49]
	v_fmac_f64_e32 v[50:51], v[18:19], v[0:1]
	v_fma_f64 v[16:17], v[20:21], v[0:1], -v[62:63]
	v_fmac_f64_e32 v[64:65], v[22:23], v[0:1]
	;; [unrolled: 2-line block ×4, first 2 shown]
	v_add_f64 v[0:1], v[12:13], -v[2:3]
	v_add_f64 v[2:3], v[14:15], -v[50:51]
	;; [unrolled: 1-line block ×8, first 2 shown]
	v_fma_f64 v[12:13], v[12:13], 2.0, -v[0:1]
	v_fma_f64 v[14:15], v[14:15], 2.0, -v[2:3]
	;; [unrolled: 1-line block ×8, first 2 shown]
	ds_write_b128 v53, v[0:3] offset:128
	ds_write_b128 v53, v[12:15]
	ds_write_b128 v57, v[28:31]
	ds_write_b128 v57, v[16:19] offset:128
	ds_write_b128 v59, v[32:35]
	ds_write_b128 v59, v[20:23] offset:128
	;; [unrolled: 2-line block ×3, first 2 shown]
	v_lshlrev_b32_e32 v0, 4, v47
	s_waitcnt lgkmcnt(0)
	s_barrier
	global_load_dwordx4 v[0:3], v0, s[4:5] offset:224
	v_and_or_b32 v12, v7, s2, v47
	v_and_or_b32 v13, v8, s3, v47
	;; [unrolled: 1-line block ×4, first 2 shown]
	v_lshl_add_u32 v57, v12, 4, 0
	v_lshl_add_u32 v59, v13, 4, 0
	;; [unrolled: 1-line block ×4, first 2 shown]
	ds_read_b128 v[12:15], v114
	ds_read_b128 v[16:19], v114 offset:11264
	ds_read_b128 v[20:23], v114 offset:14080
	;; [unrolled: 1-line block ×3, first 2 shown]
	ds_read_b128 v[28:31], v6
	ds_read_b128 v[32:35], v114 offset:19712
	ds_read_b128 v[36:39], v4
	ds_read_b128 v[40:43], v5
	v_and_b32_e32 v11, 31, v60
	v_and_b32_e32 v53, 31, v52
	s_waitcnt lgkmcnt(0)
	s_barrier
	v_lshlrev_b32_e32 v47, 4, v11
	s_movk_i32 s3, 0x3c0
	s_movk_i32 s6, 0x7c0
	s_movk_i32 s2, 0x1c0
	v_and_or_b32 v8, v8, s3, v11
	v_and_or_b32 v9, v9, s6, v53
	;; [unrolled: 1-line block ×3, first 2 shown]
	s_waitcnt vmcnt(0)
	v_mul_f64 v[48:49], v[18:19], v[2:3]
	v_mul_f64 v[50:51], v[16:17], v[2:3]
	;; [unrolled: 1-line block ×8, first 2 shown]
	v_fma_f64 v[2:3], v[16:17], v[0:1], -v[48:49]
	v_fmac_f64_e32 v[50:51], v[18:19], v[0:1]
	v_fma_f64 v[16:17], v[20:21], v[0:1], -v[62:63]
	v_fmac_f64_e32 v[64:65], v[22:23], v[0:1]
	;; [unrolled: 2-line block ×4, first 2 shown]
	v_add_f64 v[0:1], v[12:13], -v[2:3]
	v_add_f64 v[2:3], v[14:15], -v[50:51]
	;; [unrolled: 1-line block ×8, first 2 shown]
	v_fma_f64 v[12:13], v[12:13], 2.0, -v[0:1]
	v_fma_f64 v[14:15], v[14:15], 2.0, -v[2:3]
	;; [unrolled: 1-line block ×8, first 2 shown]
	ds_write_b128 v57, v[0:3] offset:256
	ds_write_b128 v57, v[12:15]
	ds_write_b128 v59, v[28:31]
	ds_write_b128 v59, v[16:19] offset:256
	ds_write_b128 v61, v[32:35]
	ds_write_b128 v61, v[20:23] offset:256
	;; [unrolled: 2-line block ×3, first 2 shown]
	v_and_b32_e32 v20, 31, v56
	v_lshlrev_b32_e32 v12, 4, v53
	v_lshlrev_b32_e32 v16, 4, v20
	s_waitcnt lgkmcnt(0)
	s_barrier
	global_load_dwordx4 v[0:3], v47, s[4:5] offset:480
	v_and_or_b32 v10, v10, s6, v20
	global_load_dwordx4 v[12:15], v12, s[4:5] offset:480
	v_lshl_add_u32 v53, v8, 4, 0
	global_load_dwordx4 v[16:19], v16, s[4:5] offset:480
	v_lshl_add_u32 v57, v9, 4, 0
	v_lshl_add_u32 v59, v10, 4, 0
	ds_read_b128 v[8:11], v114
	ds_read_b128 v[20:23], v114 offset:11264
	ds_read_b128 v[24:27], v114 offset:14080
	;; [unrolled: 1-line block ×3, first 2 shown]
	ds_read_b128 v[32:35], v6
	ds_read_b128 v[36:39], v114 offset:19712
	ds_read_b128 v[40:43], v4
	ds_read_b128 v[48:51], v5
	v_lshl_add_u32 v47, v7, 4, 0
	s_waitcnt lgkmcnt(0)
	s_barrier
	s_waitcnt vmcnt(2)
	v_mul_f64 v[4:5], v[26:27], v[2:3]
	v_mul_f64 v[2:3], v[24:25], v[2:3]
	s_waitcnt vmcnt(1)
	v_mul_f64 v[6:7], v[22:23], v[14:15]
	v_mul_f64 v[62:63], v[20:21], v[14:15]
	v_mul_f64 v[64:65], v[30:31], v[14:15]
	v_mul_f64 v[66:67], v[28:29], v[14:15]
	s_waitcnt vmcnt(0)
	v_mul_f64 v[14:15], v[38:39], v[18:19]
	v_mul_f64 v[18:19], v[36:37], v[18:19]
	v_fma_f64 v[24:25], v[24:25], v[0:1], -v[4:5]
	v_fmac_f64_e32 v[2:3], v[26:27], v[0:1]
	v_fma_f64 v[0:1], v[20:21], v[12:13], -v[6:7]
	v_fmac_f64_e32 v[62:63], v[22:23], v[12:13]
	;; [unrolled: 2-line block ×4, first 2 shown]
	v_add_f64 v[4:5], v[8:9], -v[0:1]
	v_add_f64 v[6:7], v[10:11], -v[62:63]
	;; [unrolled: 1-line block ×8, first 2 shown]
	v_fma_f64 v[0:1], v[8:9], 2.0, -v[4:5]
	v_fma_f64 v[2:3], v[10:11], 2.0, -v[6:7]
	;; [unrolled: 1-line block ×8, first 2 shown]
	ds_write_b128 v47, v[4:7] offset:512
	ds_write_b128 v47, v[0:3]
	ds_write_b128 v53, v[8:11]
	ds_write_b128 v53, v[12:15] offset:512
	ds_write_b128 v57, v[16:19]
	ds_write_b128 v57, v[20:23] offset:512
	;; [unrolled: 2-line block ×3, first 2 shown]
	s_waitcnt lgkmcnt(0)
	s_barrier
	s_waitcnt lgkmcnt(0)
                                        ; implicit-def: $vgpr42_vgpr43
                                        ; implicit-def: $vgpr38_vgpr39
                                        ; implicit-def: $vgpr34_vgpr35
	s_and_saveexec_b64 s[2:3], vcc
	s_cbranch_execz .LBB0_15
; %bb.14:
	ds_read_b128 v[0:3], v114
	ds_read_b128 v[4:7], v114 offset:2048
	ds_read_b128 v[8:11], v114 offset:4096
	;; [unrolled: 1-line block ×10, first 2 shown]
.LBB0_15:
	s_or_b64 exec, exec, s[2:3]
	v_sub_u32_e32 v120, 0, v44
	v_sub_u32_e32 v121, 0, v45
	;; [unrolled: 1-line block ×3, first 2 shown]
	s_waitcnt lgkmcnt(0)
	s_barrier
	s_and_saveexec_b64 s[2:3], vcc
	s_cbranch_execz .LBB0_17
; %bb.16:
	v_and_b32_e32 v53, 63, v52
	v_mul_u32_u24_e32 v44, 10, v53
	v_lshlrev_b32_e32 v57, 4, v44
	global_load_dwordx4 v[48:51], v57, s[4:5] offset:1056
	global_load_dwordx4 v[44:47], v57, s[4:5] offset:1072
	;; [unrolled: 1-line block ×10, first 2 shown]
	s_mov_b32 s10, 0x9bcd5057
	s_mov_b32 s6, 0x8764f0ba
	;; [unrolled: 1-line block ×30, first 2 shown]
	s_waitcnt vmcnt(9)
	v_mul_f64 v[62:63], v[20:21], v[50:51]
	v_mul_f64 v[108:109], v[22:23], v[50:51]
	s_waitcnt vmcnt(7)
	v_mul_f64 v[64:65], v[16:17], v[78:79]
	v_mul_f64 v[112:113], v[18:19], v[78:79]
	;; [unrolled: 1-line block ×4, first 2 shown]
	s_waitcnt vmcnt(6)
	v_mul_f64 v[46:47], v[24:25], v[82:83]
	s_waitcnt vmcnt(4)
	v_mul_f64 v[66:67], v[32:33], v[90:91]
	;; [unrolled: 2-line block ×4, first 2 shown]
	v_mul_f64 v[90:91], v[34:35], v[90:91]
	v_mul_f64 v[74:75], v[8:9], v[94:95]
	;; [unrolled: 1-line block ×6, first 2 shown]
	v_fmac_f64_e32 v[78:79], v[6:7], v[100:101]
	v_fmac_f64_e32 v[72:73], v[42:43], v[104:105]
	v_mul_f64 v[82:83], v[26:27], v[82:83]
	v_mul_f64 v[68:69], v[12:13], v[86:87]
	;; [unrolled: 1-line block ×3, first 2 shown]
	v_fmac_f64_e32 v[46:47], v[26:27], v[80:81]
	v_fmac_f64_e32 v[66:67], v[34:35], v[88:89]
	v_fma_f64 v[26:27], v[32:33], v[88:89], -v[90:91]
	v_fmac_f64_e32 v[74:75], v[10:11], v[92:93]
	v_fmac_f64_e32 v[70:71], v[38:39], v[96:97]
	v_fma_f64 v[32:33], v[36:37], v[96:97], -v[98:99]
	v_fma_f64 v[36:37], v[4:5], v[100:101], -v[102:103]
	;; [unrolled: 1-line block ×3, first 2 shown]
	v_add_f64 v[100:101], v[78:79], v[72:73]
	v_mul_f64 v[86:87], v[14:15], v[86:87]
	v_fmac_f64_e32 v[50:51], v[30:31], v[44:45]
	v_fmac_f64_e32 v[64:65], v[18:19], v[76:77]
	v_fma_f64 v[30:31], v[16:17], v[76:77], -v[112:113]
	v_fmac_f64_e32 v[68:69], v[14:15], v[84:85]
	v_fma_f64 v[76:77], v[8:9], v[92:93], -v[94:95]
	v_add_f64 v[98:99], v[74:75], v[70:71]
	v_add_f64 v[40:41], v[36:37], -v[34:35]
	v_mul_f64 v[8:9], v[100:101], s[10:11]
	v_fma_f64 v[28:29], v[28:29], v[44:45], -v[110:111]
	v_fma_f64 v[44:45], v[12:13], v[84:85], -v[86:87]
	v_add_f64 v[38:39], v[76:77], -v[32:33]
	v_add_f64 v[94:95], v[68:69], v[66:67]
	v_mul_f64 v[10:11], v[98:99], s[6:7]
	v_fma_f64 v[4:5], s[14:15], v[40:41], v[8:9]
	v_fma_f64 v[24:25], v[24:25], v[80:81], -v[82:83]
	v_add_f64 v[42:43], v[44:45], -v[26:27]
	v_add_f64 v[92:93], v[64:65], v[46:47]
	v_mul_f64 v[12:13], v[94:95], s[12:13]
	v_fma_f64 v[6:7], s[8:9], v[38:39], v[10:11]
	v_add_f64 v[4:5], v[2:3], v[4:5]
	v_add_f64 v[82:83], v[30:31], -v[24:25]
	v_mul_f64 v[14:15], v[92:93], s[16:17]
	v_fma_f64 v[16:17], s[20:21], v[42:43], v[12:13]
	v_add_f64 v[4:5], v[6:7], v[4:5]
	v_add_f64 v[96:97], v[78:79], -v[72:73]
	v_fma_f64 v[18:19], s[18:19], v[82:83], v[14:15]
	v_add_f64 v[4:5], v[16:17], v[4:5]
	v_add_f64 v[80:81], v[36:37], v[34:35]
	v_mul_f64 v[16:17], v[96:97], s[22:23]
	v_add_f64 v[106:107], v[74:75], -v[70:71]
	v_add_f64 v[4:5], v[18:19], v[4:5]
	v_fma_f64 v[6:7], s[10:11], v[80:81], v[16:17]
	v_add_f64 v[84:85], v[76:77], v[32:33]
	v_mul_f64 v[18:19], v[106:107], s[24:25]
	v_fmac_f64_e32 v[8:9], s[22:23], v[40:41]
	v_fmac_f64_e32 v[62:63], v[22:23], v[48:49]
	v_fma_f64 v[48:49], v[20:21], v[48:49], -v[108:109]
	v_add_f64 v[6:7], v[0:1], v[6:7]
	v_fma_f64 v[20:21], s[6:7], v[84:85], v[18:19]
	v_add_f64 v[104:105], v[68:69], -v[66:67]
	v_fmac_f64_e32 v[10:11], s[24:25], v[38:39]
	v_add_f64 v[8:9], v[2:3], v[8:9]
	v_add_f64 v[6:7], v[20:21], v[6:7]
	;; [unrolled: 1-line block ×3, first 2 shown]
	v_mul_f64 v[20:21], v[104:105], s[28:29]
	v_add_f64 v[8:9], v[10:11], v[8:9]
	v_fmac_f64_e32 v[12:13], s[28:29], v[42:43]
	v_fma_f64 v[22:23], s[12:13], v[86:87], v[20:21]
	v_add_f64 v[108:109], v[64:65], -v[46:47]
	v_add_f64 v[8:9], v[12:13], v[8:9]
	v_fma_f64 v[12:13], v[80:81], s[10:11], -v[16:17]
	v_add_f64 v[6:7], v[22:23], v[6:7]
	v_add_f64 v[88:89], v[30:31], v[24:25]
	v_mul_f64 v[22:23], v[108:109], s[34:35]
	v_add_f64 v[110:111], v[62:63], v[50:51]
	v_fma_f64 v[10:11], v[84:85], s[6:7], -v[18:19]
	v_add_f64 v[12:13], v[0:1], v[12:13]
	v_fma_f64 v[90:91], s[16:17], v[88:89], v[22:23]
	v_mul_f64 v[124:125], v[110:111], s[26:27]
	v_add_f64 v[102:103], v[48:49], -v[28:29]
	v_add_f64 v[112:113], v[62:63], -v[50:51]
	v_fmac_f64_e32 v[14:15], s[34:35], v[82:83]
	v_add_f64 v[10:11], v[10:11], v[12:13]
	v_fma_f64 v[12:13], v[86:87], s[12:13], -v[20:21]
	v_add_f64 v[122:123], v[90:91], v[6:7]
	v_fma_f64 v[6:7], s[36:37], v[102:103], v[124:125]
	v_add_f64 v[90:91], v[48:49], v[28:29]
	v_mul_f64 v[126:127], v[112:113], s[30:31]
	v_add_f64 v[8:9], v[14:15], v[8:9]
	v_add_f64 v[10:11], v[12:13], v[10:11]
	v_fma_f64 v[12:13], v[88:89], s[16:17], -v[22:23]
	v_fmac_f64_e32 v[124:125], s[30:31], v[102:103]
	v_add_f64 v[12:13], v[12:13], v[10:11]
	v_add_f64 v[10:11], v[124:125], v[8:9]
	v_fma_f64 v[8:9], v[90:91], s[26:27], -v[126:127]
	v_mul_f64 v[16:17], v[100:101], s[12:13]
	v_add_f64 v[8:9], v[8:9], v[12:13]
	v_fma_f64 v[12:13], s[20:21], v[40:41], v[16:17]
	v_mul_f64 v[18:19], v[98:99], s[26:27]
	v_add_f64 v[12:13], v[2:3], v[12:13]
	v_fma_f64 v[14:15], s[30:31], v[38:39], v[18:19]
	v_mul_f64 v[20:21], v[94:95], s[6:7]
	v_add_f64 v[6:7], v[6:7], v[4:5]
	v_fma_f64 v[4:5], s[26:27], v[90:91], v[126:127]
	v_add_f64 v[12:13], v[14:15], v[12:13]
	v_fma_f64 v[14:15], s[24:25], v[42:43], v[20:21]
	v_mul_f64 v[22:23], v[92:93], s[10:11]
	v_add_f64 v[4:5], v[4:5], v[122:123]
	v_add_f64 v[12:13], v[14:15], v[12:13]
	v_fma_f64 v[14:15], s[14:15], v[82:83], v[22:23]
	v_mul_f64 v[122:123], v[96:97], s[28:29]
	v_add_f64 v[12:13], v[14:15], v[12:13]
	v_fma_f64 v[14:15], s[12:13], v[80:81], v[122:123]
	v_mul_f64 v[124:125], v[106:107], s[36:37]
	v_fmac_f64_e32 v[16:17], s[28:29], v[40:41]
	v_add_f64 v[14:15], v[0:1], v[14:15]
	v_fma_f64 v[126:127], s[26:27], v[84:85], v[124:125]
	v_fmac_f64_e32 v[18:19], s[36:37], v[38:39]
	v_add_f64 v[16:17], v[2:3], v[16:17]
	v_add_f64 v[14:15], v[126:127], v[14:15]
	v_mul_f64 v[126:127], v[104:105], s[8:9]
	v_add_f64 v[16:17], v[18:19], v[16:17]
	v_fmac_f64_e32 v[20:21], s[8:9], v[42:43]
	v_fma_f64 v[128:129], s[6:7], v[86:87], v[126:127]
	v_add_f64 v[16:17], v[20:21], v[16:17]
	v_fma_f64 v[20:21], v[80:81], s[12:13], -v[122:123]
	v_add_f64 v[14:15], v[128:129], v[14:15]
	v_mul_f64 v[128:129], v[108:109], s[22:23]
	v_fma_f64 v[18:19], v[84:85], s[26:27], -v[124:125]
	v_add_f64 v[20:21], v[0:1], v[20:21]
	v_fma_f64 v[130:131], s[10:11], v[88:89], v[128:129]
	v_mul_f64 v[132:133], v[110:111], s[16:17]
	v_fmac_f64_e32 v[22:23], s[22:23], v[82:83]
	v_add_f64 v[18:19], v[18:19], v[20:21]
	v_fma_f64 v[20:21], v[86:87], s[6:7], -v[126:127]
	v_add_f64 v[130:131], v[130:131], v[14:15]
	v_fma_f64 v[14:15], s[18:19], v[102:103], v[132:133]
	v_mul_f64 v[134:135], v[112:113], s[34:35]
	v_add_f64 v[16:17], v[22:23], v[16:17]
	v_add_f64 v[18:19], v[20:21], v[18:19]
	v_fma_f64 v[20:21], v[88:89], s[10:11], -v[128:129]
	v_fmac_f64_e32 v[132:133], s[34:35], v[102:103]
	v_add_f64 v[20:21], v[20:21], v[18:19]
	v_add_f64 v[18:19], v[132:133], v[16:17]
	v_fma_f64 v[16:17], v[90:91], s[16:17], -v[134:135]
	v_mul_f64 v[122:123], v[100:101], s[26:27]
	v_add_f64 v[16:17], v[16:17], v[20:21]
	v_fma_f64 v[20:21], s[36:37], v[40:41], v[122:123]
	v_mul_f64 v[124:125], v[98:99], s[10:11]
	v_add_f64 v[20:21], v[2:3], v[20:21]
	v_fma_f64 v[22:23], s[22:23], v[38:39], v[124:125]
	v_mul_f64 v[126:127], v[94:95], s[16:17]
	v_add_f64 v[14:15], v[14:15], v[12:13]
	v_fma_f64 v[12:13], s[16:17], v[90:91], v[134:135]
	v_add_f64 v[20:21], v[22:23], v[20:21]
	v_fma_f64 v[22:23], s[18:19], v[42:43], v[126:127]
	v_mul_f64 v[128:129], v[92:93], s[6:7]
	v_add_f64 v[12:13], v[12:13], v[130:131]
	v_add_f64 v[20:21], v[22:23], v[20:21]
	v_fma_f64 v[22:23], s[24:25], v[82:83], v[128:129]
	v_mul_f64 v[130:131], v[96:97], s[30:31]
	v_add_f64 v[20:21], v[22:23], v[20:21]
	v_fma_f64 v[22:23], s[26:27], v[80:81], v[130:131]
	v_mul_f64 v[132:133], v[106:107], s[14:15]
	v_fmac_f64_e32 v[122:123], s[30:31], v[40:41]
	v_add_f64 v[22:23], v[0:1], v[22:23]
	v_fma_f64 v[134:135], s[10:11], v[84:85], v[132:133]
	v_fmac_f64_e32 v[124:125], s[14:15], v[38:39]
	v_add_f64 v[122:123], v[2:3], v[122:123]
	v_add_f64 v[22:23], v[134:135], v[22:23]
	v_mul_f64 v[134:135], v[104:105], s[34:35]
	v_add_f64 v[122:123], v[124:125], v[122:123]
	v_fmac_f64_e32 v[126:127], s[34:35], v[42:43]
	v_fma_f64 v[136:137], s[16:17], v[86:87], v[134:135]
	v_add_f64 v[122:123], v[126:127], v[122:123]
	v_fma_f64 v[126:127], v[80:81], s[26:27], -v[130:131]
	v_add_f64 v[22:23], v[136:137], v[22:23]
	v_mul_f64 v[136:137], v[108:109], s[8:9]
	v_fma_f64 v[124:125], v[84:85], s[10:11], -v[132:133]
	v_add_f64 v[126:127], v[0:1], v[126:127]
	v_fma_f64 v[138:139], s[6:7], v[88:89], v[136:137]
	v_mul_f64 v[140:141], v[110:111], s[12:13]
	v_fmac_f64_e32 v[128:129], s[8:9], v[82:83]
	v_add_f64 v[124:125], v[124:125], v[126:127]
	v_fma_f64 v[126:127], v[86:87], s[16:17], -v[134:135]
	v_add_f64 v[138:139], v[138:139], v[22:23]
	v_fma_f64 v[22:23], s[20:21], v[102:103], v[140:141]
	;; [unrolled: 50-line block ×3, first 2 shown]
	v_mul_f64 v[150:151], v[112:113], s[24:25]
	v_add_f64 v[130:131], v[136:137], v[130:131]
	v_add_f64 v[132:133], v[134:135], v[132:133]
	v_fma_f64 v[134:135], v[88:89], s[26:27], -v[144:145]
	v_fmac_f64_e32 v[148:149], s[24:25], v[102:103]
	v_add_f64 v[134:135], v[134:135], v[132:133]
	v_add_f64 v[132:133], v[148:149], v[130:131]
	v_fma_f64 v[130:131], v[90:91], s[6:7], -v[150:151]
	v_mul_f64 v[100:101], v[100:101], s[6:7]
	v_add_f64 v[130:131], v[130:131], v[134:135]
	v_mul_f64 v[98:99], v[98:99], s[16:17]
	v_fma_f64 v[134:135], s[24:25], v[40:41], v[100:101]
	v_add_f64 v[134:135], v[2:3], v[134:135]
	v_fma_f64 v[136:137], s[34:35], v[38:39], v[98:99]
	v_add_f64 v[134:135], v[136:137], v[134:135]
	v_mul_f64 v[136:137], v[94:95], s[26:27]
	v_fma_f64 v[94:95], s[36:37], v[42:43], v[136:137]
	v_add_f64 v[94:95], v[94:95], v[134:135]
	v_mul_f64 v[134:135], v[92:93], s[12:13]
	v_fma_f64 v[92:93], s[20:21], v[82:83], v[134:135]
	v_mul_f64 v[96:97], v[96:97], s[8:9]
	v_add_f64 v[92:93], v[92:93], v[94:95]
	v_fma_f64 v[94:95], s[6:7], v[80:81], v[96:97]
	v_fmac_f64_e32 v[100:101], s[8:9], v[40:41]
	v_fma_f64 v[80:81], v[80:81], s[6:7], -v[96:97]
	v_add_f64 v[94:95], v[0:1], v[94:95]
	v_fmac_f64_e32 v[98:99], s[18:19], v[38:39]
	v_add_f64 v[38:39], v[2:3], v[100:101]
	v_add_f64 v[80:81], v[0:1], v[80:81]
	;; [unrolled: 1-line block ×10, first 2 shown]
	v_mul_f64 v[106:107], v[106:107], s[18:19]
	v_add_f64 v[2:3], v[2:3], v[62:63]
	v_add_f64 v[0:1], v[0:1], v[48:49]
	v_fma_f64 v[138:139], s[16:17], v[84:85], v[106:107]
	v_mul_f64 v[104:105], v[104:105], s[30:31]
	v_add_f64 v[2:3], v[2:3], v[50:51]
	v_add_f64 v[0:1], v[0:1], v[28:29]
	;; [unrolled: 1-line block ×3, first 2 shown]
	v_fma_f64 v[138:139], s[26:27], v[86:87], v[104:105]
	v_mul_f64 v[108:109], v[108:109], s[28:29]
	v_fma_f64 v[84:85], v[84:85], s[16:17], -v[106:107]
	v_add_f64 v[2:3], v[2:3], v[46:47]
	v_add_f64 v[0:1], v[0:1], v[24:25]
	v_lshrrev_b32_e32 v24, 6, v52
	v_add_f64 v[94:95], v[138:139], v[94:95]
	v_fma_f64 v[138:139], s[12:13], v[88:89], v[108:109]
	v_mul_f64 v[110:111], v[110:111], s[10:11]
	v_fmac_f64_e32 v[134:135], s[28:29], v[82:83]
	v_fmac_f64_e32 v[136:137], s[30:31], v[42:43]
	v_add_f64 v[38:39], v[98:99], v[38:39]
	v_fma_f64 v[82:83], v[86:87], s[26:27], -v[104:105]
	v_add_f64 v[80:81], v[84:85], v[80:81]
	v_add_f64 v[2:3], v[2:3], v[66:67]
	;; [unrolled: 1-line block ×3, first 2 shown]
	v_mul_u32_u24_e32 v24, 0x2c0, v24
	v_add_f64 v[138:139], v[138:139], v[94:95]
	v_fma_f64 v[94:95], s[14:15], v[102:103], v[110:111]
	v_mul_f64 v[112:113], v[112:113], s[22:23]
	v_add_f64 v[38:39], v[136:137], v[38:39]
	v_fma_f64 v[40:41], v[88:89], s[12:13], -v[108:109]
	v_add_f64 v[80:81], v[82:83], v[80:81]
	v_add_f64 v[2:3], v[2:3], v[70:71]
	;; [unrolled: 1-line block ×3, first 2 shown]
	v_or_b32_e32 v24, v24, v53
	v_add_f64 v[128:129], v[128:129], v[126:127]
	v_fma_f64 v[126:127], s[6:7], v[90:91], v[150:151]
	v_add_f64 v[94:95], v[94:95], v[92:93]
	v_fma_f64 v[92:93], s[10:11], v[90:91], v[112:113]
	v_fmac_f64_e32 v[110:111], s[22:23], v[102:103]
	v_add_f64 v[38:39], v[134:135], v[38:39]
	v_fma_f64 v[42:43], v[90:91], s[10:11], -v[112:113]
	v_add_f64 v[80:81], v[40:41], v[80:81]
	v_add_f64 v[2:3], v[2:3], v[72:73]
	;; [unrolled: 1-line block ×3, first 2 shown]
	v_lshl_add_u32 v24, v24, 4, 0
	v_add_f64 v[126:127], v[126:127], v[146:147]
	v_add_f64 v[92:93], v[92:93], v[138:139]
	;; [unrolled: 1-line block ×4, first 2 shown]
	ds_write_b128 v24, v[0:3]
	ds_write_b128 v24, v[38:41] offset:1024
	ds_write_b128 v24, v[130:133] offset:2048
	ds_write_b128 v24, v[122:125] offset:3072
	ds_write_b128 v24, v[16:19] offset:4096
	ds_write_b128 v24, v[8:11] offset:5120
	ds_write_b128 v24, v[4:7] offset:6144
	ds_write_b128 v24, v[12:15] offset:7168
	ds_write_b128 v24, v[20:23] offset:8192
	ds_write_b128 v24, v[126:129] offset:9216
	ds_write_b128 v24, v[92:95] offset:10240
.LBB0_17:
	s_or_b64 exec, exec, s[2:3]
	v_mov_b32_e32 v53, 0
	v_lshl_add_u64 v[0:1], v[52:53], 4, s[4:5]
	s_movk_i32 s2, 0x2000
	v_add_co_u32_e32 v8, vcc, s2, v0
	v_mov_b32_e32 v61, v53
	s_nop 0
	v_addc_co_u32_e32 v9, vcc, 0, v1, vcc
	v_lshl_add_u64 v[0:1], v[60:61], 4, s[4:5]
	v_add_co_u32_e32 v10, vcc, s2, v0
	v_mov_b32_e32 v59, v53
	s_waitcnt lgkmcnt(0)
	s_barrier
	v_addc_co_u32_e32 v11, vcc, 0, v1, vcc
	global_load_dwordx4 v[0:3], v[8:9], off offset:3040
	global_load_dwordx4 v[4:7], v[10:11], off offset:3040
	v_lshl_add_u64 v[8:9], v[58:59], 4, s[4:5]
	v_add_co_u32_e32 v8, vcc, s2, v8
	v_mov_b32_e32 v57, v53
	s_nop 0
	v_addc_co_u32_e32 v9, vcc, 0, v9, vcc
	v_lshl_add_u64 v[12:13], v[56:57], 4, s[4:5]
	v_add_co_u32_e32 v12, vcc, s2, v12
	global_load_dwordx4 v[8:11], v[8:9], off offset:3040
	s_nop 0
	v_addc_co_u32_e32 v13, vcc, 0, v13, vcc
	global_load_dwordx4 v[16:19], v[12:13], off offset:3040
	ds_read_b128 v[20:23], v114
	ds_read_b128 v[24:27], v114 offset:11264
	v_add_u32_e32 v13, v117, v121
	v_add_u32_e32 v14, v116, v120
	ds_read_b128 v[28:31], v114 offset:14080
	ds_read_b128 v[32:35], v114 offset:16896
	v_add_u32_e32 v12, v118, v119
	ds_read_b128 v[36:39], v13
	ds_read_b128 v[40:43], v12
	;; [unrolled: 1-line block ×3, first 2 shown]
	ds_read_b128 v[48:51], v114 offset:19712
	s_waitcnt lgkmcnt(0)
	s_barrier
	s_add_u32 s2, s4, 0x57e0
	s_addc_u32 s3, s5, 0
	v_sub_u32_e32 v15, 0, v115
	v_cmp_ne_u32_e32 vcc, 0, v52
	s_waitcnt vmcnt(3)
	v_mul_f64 v[62:63], v[26:27], v[2:3]
	v_mul_f64 v[2:3], v[24:25], v[2:3]
	v_fma_f64 v[24:25], v[24:25], v[0:1], -v[62:63]
	v_fmac_f64_e32 v[2:3], v[26:27], v[0:1]
	s_waitcnt vmcnt(2)
	v_mul_f64 v[0:1], v[30:31], v[6:7]
	v_mul_f64 v[26:27], v[28:29], v[6:7]
	v_fmac_f64_e32 v[26:27], v[30:31], v[4:5]
	v_add_f64 v[2:3], v[22:23], -v[2:3]
	s_waitcnt vmcnt(1)
	v_mul_f64 v[6:7], v[34:35], v[10:11]
	v_mul_f64 v[62:63], v[32:33], v[10:11]
	v_fmac_f64_e32 v[62:63], v[34:35], v[8:9]
	s_waitcnt vmcnt(0)
	v_mul_f64 v[10:11], v[50:51], v[18:19]
	v_mul_f64 v[64:65], v[48:49], v[18:19]
	v_fma_f64 v[18:19], v[28:29], v[4:5], -v[0:1]
	v_fma_f64 v[28:29], v[32:33], v[8:9], -v[6:7]
	;; [unrolled: 1-line block ×3, first 2 shown]
	v_fmac_f64_e32 v[64:65], v[50:51], v[16:17]
	v_add_f64 v[0:1], v[20:21], -v[24:25]
	v_fma_f64 v[4:5], v[20:21], 2.0, -v[0:1]
	v_fma_f64 v[6:7], v[22:23], 2.0, -v[2:3]
	v_add_f64 v[8:9], v[44:45], -v[18:19]
	v_add_f64 v[10:11], v[46:47], -v[26:27]
	;; [unrolled: 1-line block ×6, first 2 shown]
	ds_write_b128 v114, v[0:3] offset:11264
	v_fma_f64 v[0:1], v[44:45], 2.0, -v[8:9]
	v_fma_f64 v[2:3], v[46:47], 2.0, -v[10:11]
	;; [unrolled: 1-line block ×6, first 2 shown]
	ds_write_b128 v114, v[4:7]
	ds_write_b128 v14, v[8:11] offset:11264
	ds_write_b128 v14, v[0:3]
	ds_write_b128 v13, v[24:27]
	ds_write_b128 v13, v[16:19] offset:11264
	ds_write_b128 v12, v[28:31]
	ds_write_b128 v12, v[20:23] offset:11264
	s_waitcnt lgkmcnt(0)
	s_barrier
	ds_read_b128 v[4:7], v114
                                        ; implicit-def: $vgpr0_vgpr1
                                        ; implicit-def: $vgpr8_vgpr9
                                        ; implicit-def: $vgpr10_vgpr11
	s_and_saveexec_b64 s[4:5], vcc
	s_xor_b64 s[4:5], exec, s[4:5]
	s_cbranch_execz .LBB0_19
; %bb.18:
	v_lshl_add_u64 v[0:1], v[52:53], 4, s[2:3]
	global_load_dwordx4 v[16:19], v[0:1], off
	ds_read_b128 v[0:3], v15 offset:22528
	s_waitcnt lgkmcnt(0)
	v_add_f64 v[20:21], v[4:5], v[0:1]
	v_add_f64 v[0:1], v[4:5], -v[0:1]
	v_add_f64 v[8:9], v[6:7], v[2:3]
	v_add_f64 v[2:3], v[6:7], -v[2:3]
	v_mul_f64 v[6:7], v[0:1], 0.5
	v_mul_f64 v[4:5], v[8:9], 0.5
	;; [unrolled: 1-line block ×3, first 2 shown]
	s_waitcnt vmcnt(0)
	v_mul_f64 v[2:3], v[6:7], v[18:19]
	v_fma_f64 v[10:11], v[4:5], v[18:19], v[0:1]
	v_fma_f64 v[18:19], v[4:5], v[18:19], -v[0:1]
	v_fma_f64 v[8:9], 0.5, v[20:21], v[2:3]
	v_fma_f64 v[0:1], v[20:21], 0.5, -v[2:3]
	v_fma_f64 v[10:11], -v[16:17], v[6:7], v[10:11]
	v_fmac_f64_e32 v[8:9], v[4:5], v[16:17]
	v_fma_f64 v[0:1], -v[4:5], v[16:17], v[0:1]
	v_fma_f64 v[2:3], -v[16:17], v[6:7], v[18:19]
                                        ; implicit-def: $vgpr4_vgpr5
.LBB0_19:
	s_andn2_saveexec_b64 s[4:5], s[4:5]
	s_cbranch_execz .LBB0_21
; %bb.20:
	v_mov_b32_e32 v16, 0
	ds_read_b64 v[2:3], v16 offset:11272
	v_mov_b64_e32 v[10:11], 0
	s_waitcnt lgkmcnt(1)
	v_add_f64 v[8:9], v[4:5], v[6:7]
	v_add_f64 v[0:1], v[4:5], -v[6:7]
	s_waitcnt lgkmcnt(0)
	v_xor_b32_e32 v3, 0x80000000, v3
	ds_write_b64 v16, v[2:3] offset:11272
	v_mov_b64_e32 v[2:3], v[10:11]
.LBB0_21:
	s_or_b64 exec, exec, s[4:5]
	s_waitcnt lgkmcnt(0)
	v_lshl_add_u64 v[4:5], v[60:61], 4, s[2:3]
	global_load_dwordx4 v[4:7], v[4:5], off
	v_lshl_add_u64 v[16:17], v[58:59], 4, s[2:3]
	global_load_dwordx4 v[16:19], v[16:17], off
	v_lshl_add_u64 v[20:21], v[56:57], 4, s[2:3]
	global_load_dwordx4 v[20:23], v[20:21], off
	ds_write2_b64 v114, v[8:9], v[10:11] offset1:1
	ds_write_b128 v15, v[0:3] offset:22528
	ds_read_b128 v[0:3], v14
	ds_read_b128 v[8:11], v15 offset:19712
	s_waitcnt lgkmcnt(0)
	v_add_f64 v[24:25], v[0:1], v[8:9]
	v_add_f64 v[26:27], v[2:3], v[10:11]
	v_add_f64 v[0:1], v[0:1], -v[8:9]
	v_add_f64 v[2:3], v[2:3], -v[10:11]
	v_mul_f64 v[8:9], v[26:27], 0.5
	v_mul_f64 v[0:1], v[0:1], 0.5
	v_mul_f64 v[2:3], v[2:3], 0.5
	s_waitcnt vmcnt(2)
	v_mul_f64 v[10:11], v[0:1], v[6:7]
	v_fma_f64 v[26:27], v[8:9], v[6:7], v[2:3]
	v_fma_f64 v[2:3], v[8:9], v[6:7], -v[2:3]
	v_fma_f64 v[6:7], 0.5, v[24:25], v[10:11]
	v_fma_f64 v[26:27], -v[4:5], v[0:1], v[26:27]
	v_fma_f64 v[10:11], v[24:25], 0.5, -v[10:11]
	v_fma_f64 v[0:1], -v[4:5], v[0:1], v[2:3]
	v_fmac_f64_e32 v[6:7], v[8:9], v[4:5]
	ds_write_b64 v14, v[26:27] offset:8
	v_fma_f64 v[2:3], -v[8:9], v[4:5], v[10:11]
	ds_write_b64 v15, v[0:1] offset:19720
	ds_write_b64 v14, v[6:7]
	ds_write_b64 v15, v[2:3] offset:19712
	ds_read_b128 v[0:3], v13
	ds_read_b128 v[4:7], v15 offset:16896
	s_waitcnt lgkmcnt(0)
	v_add_f64 v[8:9], v[0:1], v[4:5]
	v_add_f64 v[10:11], v[2:3], v[6:7]
	v_add_f64 v[0:1], v[0:1], -v[4:5]
	v_add_f64 v[2:3], v[2:3], -v[6:7]
	v_mul_f64 v[4:5], v[10:11], 0.5
	v_mul_f64 v[0:1], v[0:1], 0.5
	v_mul_f64 v[2:3], v[2:3], 0.5
	s_waitcnt vmcnt(1)
	v_mul_f64 v[6:7], v[0:1], v[18:19]
	v_fma_f64 v[10:11], v[4:5], v[18:19], v[2:3]
	v_fma_f64 v[2:3], v[4:5], v[18:19], -v[2:3]
	v_fma_f64 v[18:19], 0.5, v[8:9], v[6:7]
	v_fma_f64 v[10:11], -v[16:17], v[0:1], v[10:11]
	v_fma_f64 v[6:7], v[8:9], 0.5, -v[6:7]
	v_fma_f64 v[0:1], -v[16:17], v[0:1], v[2:3]
	v_fmac_f64_e32 v[18:19], v[4:5], v[16:17]
	ds_write_b64 v13, v[10:11] offset:8
	v_fma_f64 v[2:3], -v[4:5], v[16:17], v[6:7]
	ds_write_b64 v15, v[0:1] offset:16904
	ds_write_b64 v13, v[18:19]
	ds_write_b64 v15, v[2:3] offset:16896
	;; [unrolled: 24-line block ×3, first 2 shown]
	s_waitcnt lgkmcnt(0)
	s_barrier
	s_and_saveexec_b64 s[2:3], s[0:1]
	s_cbranch_execz .LBB0_24
; %bb.22:
	ds_read_b128 v[0:3], v114
	ds_read_b128 v[4:7], v114 offset:2816
	v_lshl_add_u64 v[12:13], v[52:53], 4, v[54:55]
	ds_read_b128 v[8:11], v114 offset:5632
	s_movk_i32 s0, 0xaf
	s_waitcnt lgkmcnt(2)
	global_store_dwordx4 v[12:13], v[0:3], off
	s_waitcnt lgkmcnt(1)
	global_store_dwordx4 v[12:13], v[4:7], off offset:2816
	ds_read_b128 v[0:3], v114 offset:8448
	s_nop 0
	v_add_co_u32_e32 v4, vcc, 0x1000, v12
	s_nop 1
	v_addc_co_u32_e32 v5, vcc, 0, v13, vcc
	s_waitcnt lgkmcnt(1)
	global_store_dwordx4 v[4:5], v[8:11], off offset:1536
	ds_read_b128 v[4:7], v114 offset:11264
	s_nop 0
	v_add_co_u32_e32 v8, vcc, 0x2000, v12
	s_nop 1
	v_addc_co_u32_e32 v9, vcc, 0, v13, vcc
	s_waitcnt lgkmcnt(1)
	global_store_dwordx4 v[8:9], v[0:3], off offset:256
	ds_read_b128 v[0:3], v114 offset:14080
	s_waitcnt lgkmcnt(1)
	global_store_dwordx4 v[8:9], v[4:7], off offset:3072
	s_nop 1
	v_add_co_u32_e32 v4, vcc, 0x3000, v12
	s_nop 1
	v_addc_co_u32_e32 v5, vcc, 0, v13, vcc
	s_waitcnt lgkmcnt(0)
	global_store_dwordx4 v[4:5], v[0:3], off offset:1792
	ds_read_b128 v[0:3], v114 offset:16896
	ds_read_b128 v[4:7], v114 offset:19712
	v_add_co_u32_e32 v8, vcc, 0x4000, v12
	s_nop 1
	v_addc_co_u32_e32 v9, vcc, 0, v13, vcc
	v_cmp_eq_u32_e32 vcc, s0, v52
	s_waitcnt lgkmcnt(1)
	global_store_dwordx4 v[8:9], v[0:3], off offset:512
	s_waitcnt lgkmcnt(0)
	global_store_dwordx4 v[8:9], v[4:7], off offset:3328
	s_and_b64 exec, exec, vcc
	s_cbranch_execz .LBB0_24
; %bb.23:
	v_mov_b32_e32 v0, 0
	ds_read_b128 v[0:3], v0 offset:22528
	v_add_co_u32_e32 v4, vcc, 0x5000, v54
	s_nop 1
	v_addc_co_u32_e32 v5, vcc, 0, v55, vcc
	s_waitcnt lgkmcnt(0)
	global_store_dwordx4 v[4:5], v[0:3], off offset:2048
.LBB0_24:
	s_endpgm
	.section	.rodata,"a",@progbits
	.p2align	6, 0x0
	.amdhsa_kernel fft_rtc_fwd_len1408_factors_2_2_2_2_2_2_11_2_wgs_176_tpt_176_halfLds_dp_ip_CI_unitstride_sbrr_R2C_dirReg
		.amdhsa_group_segment_fixed_size 0
		.amdhsa_private_segment_fixed_size 0
		.amdhsa_kernarg_size 88
		.amdhsa_user_sgpr_count 2
		.amdhsa_user_sgpr_dispatch_ptr 0
		.amdhsa_user_sgpr_queue_ptr 0
		.amdhsa_user_sgpr_kernarg_segment_ptr 1
		.amdhsa_user_sgpr_dispatch_id 0
		.amdhsa_user_sgpr_kernarg_preload_length 0
		.amdhsa_user_sgpr_kernarg_preload_offset 0
		.amdhsa_user_sgpr_private_segment_size 0
		.amdhsa_uses_dynamic_stack 0
		.amdhsa_enable_private_segment 0
		.amdhsa_system_sgpr_workgroup_id_x 1
		.amdhsa_system_sgpr_workgroup_id_y 0
		.amdhsa_system_sgpr_workgroup_id_z 0
		.amdhsa_system_sgpr_workgroup_info 0
		.amdhsa_system_vgpr_workitem_id 0
		.amdhsa_next_free_vgpr 152
		.amdhsa_next_free_sgpr 38
		.amdhsa_accum_offset 152
		.amdhsa_reserve_vcc 1
		.amdhsa_float_round_mode_32 0
		.amdhsa_float_round_mode_16_64 0
		.amdhsa_float_denorm_mode_32 3
		.amdhsa_float_denorm_mode_16_64 3
		.amdhsa_dx10_clamp 1
		.amdhsa_ieee_mode 1
		.amdhsa_fp16_overflow 0
		.amdhsa_tg_split 0
		.amdhsa_exception_fp_ieee_invalid_op 0
		.amdhsa_exception_fp_denorm_src 0
		.amdhsa_exception_fp_ieee_div_zero 0
		.amdhsa_exception_fp_ieee_overflow 0
		.amdhsa_exception_fp_ieee_underflow 0
		.amdhsa_exception_fp_ieee_inexact 0
		.amdhsa_exception_int_div_zero 0
	.end_amdhsa_kernel
	.text
.Lfunc_end0:
	.size	fft_rtc_fwd_len1408_factors_2_2_2_2_2_2_11_2_wgs_176_tpt_176_halfLds_dp_ip_CI_unitstride_sbrr_R2C_dirReg, .Lfunc_end0-fft_rtc_fwd_len1408_factors_2_2_2_2_2_2_11_2_wgs_176_tpt_176_halfLds_dp_ip_CI_unitstride_sbrr_R2C_dirReg
                                        ; -- End function
	.section	.AMDGPU.csdata,"",@progbits
; Kernel info:
; codeLenInByte = 9148
; NumSgprs: 44
; NumVgprs: 152
; NumAgprs: 0
; TotalNumVgprs: 152
; ScratchSize: 0
; MemoryBound: 0
; FloatMode: 240
; IeeeMode: 1
; LDSByteSize: 0 bytes/workgroup (compile time only)
; SGPRBlocks: 5
; VGPRBlocks: 18
; NumSGPRsForWavesPerEU: 44
; NumVGPRsForWavesPerEU: 152
; AccumOffset: 152
; Occupancy: 3
; WaveLimiterHint : 1
; COMPUTE_PGM_RSRC2:SCRATCH_EN: 0
; COMPUTE_PGM_RSRC2:USER_SGPR: 2
; COMPUTE_PGM_RSRC2:TRAP_HANDLER: 0
; COMPUTE_PGM_RSRC2:TGID_X_EN: 1
; COMPUTE_PGM_RSRC2:TGID_Y_EN: 0
; COMPUTE_PGM_RSRC2:TGID_Z_EN: 0
; COMPUTE_PGM_RSRC2:TIDIG_COMP_CNT: 0
; COMPUTE_PGM_RSRC3_GFX90A:ACCUM_OFFSET: 37
; COMPUTE_PGM_RSRC3_GFX90A:TG_SPLIT: 0
	.text
	.p2alignl 6, 3212836864
	.fill 256, 4, 3212836864
	.type	__hip_cuid_8d4a5bb89431154c,@object ; @__hip_cuid_8d4a5bb89431154c
	.section	.bss,"aw",@nobits
	.globl	__hip_cuid_8d4a5bb89431154c
__hip_cuid_8d4a5bb89431154c:
	.byte	0                               ; 0x0
	.size	__hip_cuid_8d4a5bb89431154c, 1

	.ident	"AMD clang version 19.0.0git (https://github.com/RadeonOpenCompute/llvm-project roc-6.4.0 25133 c7fe45cf4b819c5991fe208aaa96edf142730f1d)"
	.section	".note.GNU-stack","",@progbits
	.addrsig
	.addrsig_sym __hip_cuid_8d4a5bb89431154c
	.amdgpu_metadata
---
amdhsa.kernels:
  - .agpr_count:     0
    .args:
      - .actual_access:  read_only
        .address_space:  global
        .offset:         0
        .size:           8
        .value_kind:     global_buffer
      - .offset:         8
        .size:           8
        .value_kind:     by_value
      - .actual_access:  read_only
        .address_space:  global
        .offset:         16
        .size:           8
        .value_kind:     global_buffer
      - .actual_access:  read_only
        .address_space:  global
        .offset:         24
        .size:           8
        .value_kind:     global_buffer
      - .offset:         32
        .size:           8
        .value_kind:     by_value
      - .actual_access:  read_only
        .address_space:  global
        .offset:         40
        .size:           8
        .value_kind:     global_buffer
      - .actual_access:  read_only
        .address_space:  global
        .offset:         48
        .size:           8
        .value_kind:     global_buffer
      - .offset:         56
        .size:           4
        .value_kind:     by_value
      - .actual_access:  read_only
        .address_space:  global
        .offset:         64
        .size:           8
        .value_kind:     global_buffer
      - .actual_access:  read_only
        .address_space:  global
        .offset:         72
        .size:           8
        .value_kind:     global_buffer
      - .address_space:  global
        .offset:         80
        .size:           8
        .value_kind:     global_buffer
    .group_segment_fixed_size: 0
    .kernarg_segment_align: 8
    .kernarg_segment_size: 88
    .language:       OpenCL C
    .language_version:
      - 2
      - 0
    .max_flat_workgroup_size: 176
    .name:           fft_rtc_fwd_len1408_factors_2_2_2_2_2_2_11_2_wgs_176_tpt_176_halfLds_dp_ip_CI_unitstride_sbrr_R2C_dirReg
    .private_segment_fixed_size: 0
    .sgpr_count:     44
    .sgpr_spill_count: 0
    .symbol:         fft_rtc_fwd_len1408_factors_2_2_2_2_2_2_11_2_wgs_176_tpt_176_halfLds_dp_ip_CI_unitstride_sbrr_R2C_dirReg.kd
    .uniform_work_group_size: 1
    .uses_dynamic_stack: false
    .vgpr_count:     152
    .vgpr_spill_count: 0
    .wavefront_size: 64
amdhsa.target:   amdgcn-amd-amdhsa--gfx950
amdhsa.version:
  - 1
  - 2
...

	.end_amdgpu_metadata
